;; amdgpu-corpus repo=ROCm/rocFFT kind=compiled arch=gfx1030 opt=O3
	.text
	.amdgcn_target "amdgcn-amd-amdhsa--gfx1030"
	.amdhsa_code_object_version 6
	.protected	fft_rtc_fwd_len84_factors_7_2_6_wgs_336_tpt_14_half_op_CI_CI_sbcc_twdbase8_2step_dirReg ; -- Begin function fft_rtc_fwd_len84_factors_7_2_6_wgs_336_tpt_14_half_op_CI_CI_sbcc_twdbase8_2step_dirReg
	.globl	fft_rtc_fwd_len84_factors_7_2_6_wgs_336_tpt_14_half_op_CI_CI_sbcc_twdbase8_2step_dirReg
	.p2align	8
	.type	fft_rtc_fwd_len84_factors_7_2_6_wgs_336_tpt_14_half_op_CI_CI_sbcc_twdbase8_2step_dirReg,@function
fft_rtc_fwd_len84_factors_7_2_6_wgs_336_tpt_14_half_op_CI_CI_sbcc_twdbase8_2step_dirReg: ; @fft_rtc_fwd_len84_factors_7_2_6_wgs_336_tpt_14_half_op_CI_CI_sbcc_twdbase8_2step_dirReg
; %bb.0:
	s_clause 0x1
	s_load_dwordx4 s[0:3], s[4:5], 0x18
	s_load_dwordx2 s[30:31], s[4:5], 0x28
	s_mov_b64 s[26:27], 0
	s_waitcnt lgkmcnt(0)
	s_load_dwordx2 s[28:29], s[0:1], 0x8
	s_waitcnt lgkmcnt(0)
	s_add_u32 s7, s28, -1
	s_addc_u32 s8, s29, -1
	s_add_u32 s9, 0, 0xaaaa0000
	s_addc_u32 s10, 0, 42
	s_mul_hi_u32 s12, s9, 0xffffffe8
	s_add_i32 s10, s10, 0xaaaaa80
	s_sub_i32 s12, s12, s9
	s_mul_i32 s14, s10, 0xffffffe8
	s_mul_i32 s11, s9, 0xffffffe8
	s_add_i32 s12, s12, s14
	s_mul_hi_u32 s13, s9, s11
	s_mul_i32 s16, s9, s12
	s_mul_hi_u32 s14, s9, s12
	s_mul_hi_u32 s15, s10, s11
	s_mul_i32 s11, s10, s11
	s_add_u32 s13, s13, s16
	s_addc_u32 s14, 0, s14
	s_mul_hi_u32 s17, s10, s12
	s_add_u32 s11, s13, s11
	s_mul_i32 s12, s10, s12
	s_addc_u32 s11, s14, s15
	s_addc_u32 s13, s17, 0
	s_add_u32 s11, s11, s12
	v_add_co_u32 v1, s9, s9, s11
	s_addc_u32 s11, 0, s13
	s_cmp_lg_u32 s9, 0
	s_addc_u32 s9, s10, s11
	v_readfirstlane_b32 s10, v1
	s_mul_i32 s12, s7, s9
	s_mul_hi_u32 s11, s7, s9
	s_mul_hi_u32 s13, s8, s9
	s_mul_i32 s9, s8, s9
	s_mul_hi_u32 s14, s7, s10
	s_mul_hi_u32 s15, s8, s10
	s_mul_i32 s10, s8, s10
	s_add_u32 s12, s14, s12
	s_addc_u32 s11, 0, s11
	s_add_u32 s10, s12, s10
	s_addc_u32 s10, s11, s15
	s_addc_u32 s11, s13, 0
	s_add_u32 s9, s10, s9
	s_addc_u32 s10, 0, s11
	s_mul_i32 s12, s9, 24
	s_add_u32 s11, s9, 1
	v_sub_co_u32 v1, s7, s7, s12
	s_mul_hi_u32 s12, s9, 24
	s_addc_u32 s13, s10, 0
	s_mul_i32 s14, s10, 24
	v_sub_co_u32 v2, s15, v1, 24
	s_add_u32 s16, s9, 2
	s_addc_u32 s17, s10, 0
	s_add_i32 s12, s12, s14
	s_cmp_lg_u32 s7, 0
	v_readfirstlane_b32 s7, v2
	s_subb_u32 s8, s8, s12
	s_cmp_lg_u32 s15, 0
	s_subb_u32 s12, s8, 0
	s_cmp_gt_u32 s7, 23
	s_cselect_b32 s7, -1, 0
	s_cmp_eq_u32 s12, 0
	v_readfirstlane_b32 s12, v1
	s_cselect_b32 s7, s7, -1
	s_cmp_lg_u32 s7, 0
	s_cselect_b32 s11, s16, s11
	s_cselect_b32 s13, s17, s13
	s_cmp_gt_u32 s12, 23
	s_cselect_b32 s7, -1, 0
	s_cmp_eq_u32 s8, 0
	s_cselect_b32 s7, s7, -1
	s_cmp_lg_u32 s7, 0
	s_mov_b32 s7, 0
	s_cselect_b32 s8, s11, s9
	s_cselect_b32 s9, s13, s10
	s_add_u32 s34, s8, 1
	s_addc_u32 s35, s9, 0
	v_cmp_lt_u64_e64 s8, s[6:7], s[34:35]
	s_and_b32 vcc_lo, exec_lo, s8
	s_cbranch_vccnz .LBB0_2
; %bb.1:
	v_cvt_f32_u32_e32 v1, s34
	s_sub_i32 s9, 0, s34
	s_mov_b32 s27, s7
	v_rcp_iflag_f32_e32 v1, v1
	v_mul_f32_e32 v1, 0x4f7ffffe, v1
	v_cvt_u32_f32_e32 v1, v1
	v_readfirstlane_b32 s8, v1
	s_mul_i32 s9, s9, s8
	s_mul_hi_u32 s9, s8, s9
	s_add_i32 s8, s8, s9
	s_mul_hi_u32 s8, s6, s8
	s_mul_i32 s9, s8, s34
	s_add_i32 s10, s8, 1
	s_sub_i32 s9, s6, s9
	s_sub_i32 s11, s9, s34
	s_cmp_ge_u32 s9, s34
	s_cselect_b32 s8, s10, s8
	s_cselect_b32 s9, s11, s9
	s_add_i32 s10, s8, 1
	s_cmp_ge_u32 s9, s34
	s_cselect_b32 s26, s10, s8
.LBB0_2:
	s_load_dwordx4 s[20:23], s[2:3], 0x0
	s_load_dwordx4 s[8:11], s[30:31], 0x0
	s_clause 0x1
	s_load_dwordx4 s[16:19], s[4:5], 0x8
	s_load_dwordx2 s[24:25], s[4:5], 0x0
	s_mul_i32 s12, s26, s35
	s_mul_hi_u32 s13, s26, s34
	s_mul_i32 s14, s26, s34
	s_add_i32 s13, s13, s12
	s_sub_u32 s48, s6, s14
	s_subb_u32 s12, 0, s13
	s_mul_hi_u32 s33, s48, 24
	s_mul_i32 s36, s12, 24
	s_load_dwordx4 s[12:15], s[4:5], 0x60
	s_add_i32 s33, s33, s36
	s_mul_i32 s48, s48, 24
	s_waitcnt lgkmcnt(0)
	s_mul_i32 s4, s22, s33
	s_mul_hi_u32 s5, s22, s48
	v_cmp_lt_u64_e64 s40, s[18:19], 3
	s_mul_i32 s37, s10, s33
	s_mul_hi_u32 s38, s10, s48
	s_mul_i32 s36, s23, s48
	s_mul_i32 s39, s11, s48
	s_add_i32 s4, s5, s4
	s_add_i32 s5, s38, s37
	;; [unrolled: 1-line block ×3, first 2 shown]
	s_mul_i32 s50, s22, s48
	s_add_i32 s5, s5, s39
	s_and_b32 vcc_lo, exec_lo, s40
	s_mul_i32 s4, s10, s48
	s_cbranch_vccnz .LBB0_12
; %bb.3:
	s_add_u32 s36, s30, 16
	s_addc_u32 s37, s31, 0
	s_add_u32 s38, s2, 16
	s_addc_u32 s39, s3, 0
	;; [unrolled: 2-line block ×3, first 2 shown]
	s_mov_b64 s[40:41], 2
	s_mov_b32 s42, 0
.LBB0_4:                                ; =>This Inner Loop Header: Depth=1
	s_load_dwordx2 s[44:45], s[0:1], 0x0
	s_waitcnt lgkmcnt(0)
	s_or_b64 s[46:47], s[26:27], s[44:45]
	s_mov_b32 s43, s47
                                        ; implicit-def: $sgpr46_sgpr47
	s_cmp_lg_u64 s[42:43], 0
	s_mov_b32 s43, -1
	s_cbranch_scc0 .LBB0_6
; %bb.5:                                ;   in Loop: Header=BB0_4 Depth=1
	v_cvt_f32_u32_e32 v1, s44
	v_cvt_f32_u32_e32 v2, s45
	s_sub_u32 s47, 0, s44
	s_subb_u32 s51, 0, s45
	v_fmac_f32_e32 v1, 0x4f800000, v2
	v_rcp_f32_e32 v1, v1
	v_mul_f32_e32 v1, 0x5f7ffffc, v1
	v_mul_f32_e32 v2, 0x2f800000, v1
	v_trunc_f32_e32 v2, v2
	v_fmac_f32_e32 v1, 0xcf800000, v2
	v_cvt_u32_f32_e32 v2, v2
	v_cvt_u32_f32_e32 v1, v1
	v_readfirstlane_b32 s43, v2
	v_readfirstlane_b32 s46, v1
	s_mul_i32 s52, s47, s43
	s_mul_hi_u32 s54, s47, s46
	s_mul_i32 s53, s51, s46
	s_add_i32 s52, s54, s52
	s_mul_i32 s55, s47, s46
	s_add_i32 s52, s52, s53
	s_mul_hi_u32 s54, s46, s55
	s_mul_hi_u32 s56, s43, s55
	s_mul_i32 s53, s43, s55
	s_mul_hi_u32 s55, s46, s52
	s_mul_i32 s46, s46, s52
	s_mul_hi_u32 s57, s43, s52
	s_add_u32 s46, s54, s46
	s_addc_u32 s54, 0, s55
	s_add_u32 s46, s46, s53
	s_mul_i32 s52, s43, s52
	s_addc_u32 s46, s54, s56
	s_addc_u32 s53, s57, 0
	s_add_u32 s46, s46, s52
	s_addc_u32 s52, 0, s53
	v_add_co_u32 v1, s46, v1, s46
	s_cmp_lg_u32 s46, 0
	s_addc_u32 s43, s43, s52
	v_readfirstlane_b32 s46, v1
	s_mul_i32 s52, s47, s43
	s_mul_hi_u32 s53, s47, s46
	s_mul_i32 s51, s51, s46
	s_add_i32 s52, s53, s52
	s_mul_i32 s47, s47, s46
	s_add_i32 s52, s52, s51
	s_mul_hi_u32 s53, s43, s47
	s_mul_i32 s54, s43, s47
	s_mul_hi_u32 s47, s46, s47
	s_mul_hi_u32 s55, s46, s52
	s_mul_i32 s46, s46, s52
	s_mul_hi_u32 s51, s43, s52
	s_add_u32 s46, s47, s46
	s_addc_u32 s47, 0, s55
	s_add_u32 s46, s46, s54
	s_mul_i32 s52, s43, s52
	s_addc_u32 s46, s47, s53
	s_addc_u32 s47, s51, 0
	s_add_u32 s46, s46, s52
	s_addc_u32 s47, 0, s47
	v_add_co_u32 v1, s46, v1, s46
	s_cmp_lg_u32 s46, 0
	s_addc_u32 s43, s43, s47
	v_readfirstlane_b32 s46, v1
	s_mul_i32 s51, s26, s43
	s_mul_hi_u32 s47, s26, s43
	s_mul_hi_u32 s52, s27, s43
	s_mul_i32 s43, s27, s43
	s_mul_hi_u32 s53, s26, s46
	s_mul_hi_u32 s54, s27, s46
	s_mul_i32 s46, s27, s46
	s_add_u32 s51, s53, s51
	s_addc_u32 s47, 0, s47
	s_add_u32 s46, s51, s46
	s_addc_u32 s46, s47, s54
	s_addc_u32 s47, s52, 0
	s_add_u32 s46, s46, s43
	s_addc_u32 s47, 0, s47
	s_mul_hi_u32 s43, s44, s46
	s_mul_i32 s52, s44, s47
	s_mul_i32 s53, s44, s46
	s_add_i32 s43, s43, s52
	v_sub_co_u32 v1, s52, s26, s53
	s_mul_i32 s51, s45, s46
	s_add_i32 s43, s43, s51
	v_sub_co_u32 v2, s53, v1, s44
	s_sub_i32 s51, s27, s43
	s_cmp_lg_u32 s52, 0
	s_subb_u32 s51, s51, s45
	s_cmp_lg_u32 s53, 0
	v_readfirstlane_b32 s53, v2
	s_subb_u32 s51, s51, 0
	s_cmp_ge_u32 s51, s45
	s_cselect_b32 s54, -1, 0
	s_cmp_ge_u32 s53, s44
	s_cselect_b32 s53, -1, 0
	s_cmp_eq_u32 s51, s45
	s_cselect_b32 s51, s53, s54
	s_add_u32 s53, s46, 1
	s_addc_u32 s54, s47, 0
	s_add_u32 s55, s46, 2
	s_addc_u32 s56, s47, 0
	s_cmp_lg_u32 s51, 0
	s_cselect_b32 s51, s55, s53
	s_cselect_b32 s53, s56, s54
	s_cmp_lg_u32 s52, 0
	v_readfirstlane_b32 s52, v1
	s_subb_u32 s43, s27, s43
	s_cmp_ge_u32 s43, s45
	s_cselect_b32 s54, -1, 0
	s_cmp_ge_u32 s52, s44
	s_cselect_b32 s52, -1, 0
	s_cmp_eq_u32 s43, s45
	s_cselect_b32 s43, s52, s54
	s_cmp_lg_u32 s43, 0
	s_mov_b32 s43, 0
	s_cselect_b32 s47, s53, s47
	s_cselect_b32 s46, s51, s46
.LBB0_6:                                ;   in Loop: Header=BB0_4 Depth=1
	s_andn2_b32 vcc_lo, exec_lo, s43
	s_cbranch_vccnz .LBB0_8
; %bb.7:                                ;   in Loop: Header=BB0_4 Depth=1
	v_cvt_f32_u32_e32 v1, s44
	s_sub_i32 s46, 0, s44
	v_rcp_iflag_f32_e32 v1, v1
	v_mul_f32_e32 v1, 0x4f7ffffe, v1
	v_cvt_u32_f32_e32 v1, v1
	v_readfirstlane_b32 s43, v1
	s_mul_i32 s46, s46, s43
	s_mul_hi_u32 s46, s43, s46
	s_add_i32 s43, s43, s46
	s_mul_hi_u32 s43, s26, s43
	s_mul_i32 s46, s43, s44
	s_add_i32 s47, s43, 1
	s_sub_i32 s46, s26, s46
	s_sub_i32 s51, s46, s44
	s_cmp_ge_u32 s46, s44
	s_cselect_b32 s43, s47, s43
	s_cselect_b32 s46, s51, s46
	s_add_i32 s47, s43, 1
	s_cmp_ge_u32 s46, s44
	s_cselect_b32 s46, s47, s43
	s_mov_b32 s47, s42
.LBB0_8:                                ;   in Loop: Header=BB0_4 Depth=1
	s_load_dwordx2 s[52:53], s[38:39], 0x0
	s_load_dwordx2 s[54:55], s[36:37], 0x0
	s_mul_i32 s35, s44, s35
	s_mul_hi_u32 s43, s44, s34
	s_mul_i32 s51, s45, s34
	s_mul_i32 s45, s46, s45
	s_mul_hi_u32 s56, s46, s44
	s_mul_i32 s57, s47, s44
	s_add_i32 s35, s43, s35
	s_add_i32 s43, s56, s45
	s_mul_i32 s58, s46, s44
	s_add_i32 s35, s35, s51
	s_add_i32 s43, s43, s57
	s_sub_u32 s26, s26, s58
	s_subb_u32 s27, s27, s43
	s_mul_i32 s34, s44, s34
	s_waitcnt lgkmcnt(0)
	s_mul_i32 s43, s52, s27
	s_mul_hi_u32 s45, s52, s26
	s_mul_i32 s51, s53, s26
	s_add_i32 s43, s45, s43
	s_mul_i32 s52, s52, s26
	s_mul_i32 s27, s54, s27
	s_mul_hi_u32 s45, s54, s26
	s_add_i32 s43, s43, s51
	s_add_u32 s50, s52, s50
	s_addc_u32 s49, s43, s49
	s_add_i32 s27, s45, s27
	s_mul_i32 s43, s55, s26
	s_mul_i32 s26, s54, s26
	s_add_i32 s27, s27, s43
	s_add_u32 s4, s26, s4
	s_addc_u32 s5, s27, s5
	s_add_u32 s40, s40, 1
	s_addc_u32 s41, s41, 0
	s_add_u32 s36, s36, 8
	v_cmp_ge_u64_e64 s26, s[40:41], s[18:19]
	s_addc_u32 s37, s37, 0
	s_add_u32 s38, s38, 8
	s_addc_u32 s39, s39, 0
	s_add_u32 s0, s0, 8
	s_addc_u32 s1, s1, 0
	s_and_b32 vcc_lo, exec_lo, s26
	s_cbranch_vccnz .LBB0_10
; %bb.9:                                ;   in Loop: Header=BB0_4 Depth=1
	s_mov_b64 s[26:27], s[46:47]
	s_branch .LBB0_4
.LBB0_10:
	v_cmp_lt_u64_e64 s0, s[6:7], s[34:35]
	s_mov_b64 s[26:27], 0
	s_and_b32 vcc_lo, exec_lo, s0
	s_cbranch_vccnz .LBB0_12
; %bb.11:
	v_cvt_f32_u32_e32 v1, s34
	s_sub_i32 s1, 0, s34
	v_rcp_iflag_f32_e32 v1, v1
	v_mul_f32_e32 v1, 0x4f7ffffe, v1
	v_cvt_u32_f32_e32 v1, v1
	v_readfirstlane_b32 s0, v1
	s_mul_i32 s1, s1, s0
	s_mul_hi_u32 s1, s0, s1
	s_add_i32 s0, s0, s1
	s_mul_hi_u32 s0, s6, s0
	s_mul_i32 s1, s0, s34
	s_sub_i32 s1, s6, s1
	s_add_i32 s6, s0, 1
	s_sub_i32 s7, s1, s34
	s_cmp_ge_u32 s1, s34
	s_cselect_b32 s0, s6, s0
	s_cselect_b32 s1, s7, s1
	s_add_i32 s6, s0, 1
	s_cmp_ge_u32 s1, s34
	s_cselect_b32 s26, s6, s0
.LBB0_12:
	s_lshl_b64 s[0:1], s[18:19], 3
	v_mul_u32_u24_e32 v1, 0xaab, v0
	s_add_u32 s2, s2, s0
	s_addc_u32 s3, s3, s1
	v_cmp_gt_u32_e32 vcc_lo, 0x120, v0
	s_load_dwordx2 s[2:3], s[2:3], 0x0
	v_lshrrev_b32_e32 v4, 16, v1
                                        ; implicit-def: $vgpr17
                                        ; implicit-def: $vgpr18
                                        ; implicit-def: $vgpr14
                                        ; implicit-def: $vgpr15
                                        ; implicit-def: $vgpr13
                                        ; implicit-def: $vgpr16
                                        ; implicit-def: $vgpr12
	v_mul_lo_u16 v1, v4, 24
	v_add_nc_u32_e32 v9, 12, v4
	v_add_nc_u32_e32 v10, 24, v4
	;; [unrolled: 1-line block ×4, first 2 shown]
	v_sub_nc_u16 v5, v0, v1
	v_add_nc_u32_e32 v7, 60, v4
	v_add_nc_u32_e32 v6, 0x48, v4
	v_and_b32_e32 v3, 0xffff, v5
	s_waitcnt lgkmcnt(0)
	s_mul_i32 s3, s3, s26
	s_mul_hi_u32 s6, s2, s26
	s_mul_i32 s2, s2, s26
	s_add_i32 s3, s6, s3
	s_add_u32 s6, s2, s50
	s_addc_u32 s7, s3, s49
	s_add_u32 s2, s30, s0
	s_addc_u32 s3, s31, s1
	;; [unrolled: 2-line block ×3, first 2 shown]
	v_cmp_le_u64_e64 s18, s[0:1], s[28:29]
	s_and_b32 s0, vcc_lo, s18
	s_and_saveexec_b32 s1, s0
	s_cbranch_execz .LBB0_14
; %bb.13:
	v_mad_u64_u32 v[1:2], null, s22, v3, 0
	v_mad_u64_u32 v[12:13], null, s20, v4, 0
	;; [unrolled: 1-line block ×5, first 2 shown]
	s_lshl_b64 s[30:31], s[6:7], 2
	v_mad_u64_u32 v[19:20], null, s20, v11, 0
	v_mad_u64_u32 v[21:22], null, s21, v4, v[13:14]
	v_mad_u64_u32 v[24:25], null, s21, v9, v[15:16]
	v_mov_b32_e32 v2, v18
	s_add_u32 s0, s12, s30
	v_mad_u64_u32 v[22:23], null, s20, v8, 0
	v_mov_b32_e32 v13, v21
	v_lshlrev_b64 v[1:2], 2, v[1:2]
	s_addc_u32 s19, s13, s31
	v_mov_b32_e32 v15, v24
	v_mad_u64_u32 v[24:25], null, s20, v7, 0
	v_lshlrev_b64 v[12:13], 2, v[12:13]
	v_add_co_u32 v29, s0, s0, v1
	v_add_co_ci_u32_e64 v30, s0, s19, v2, s0
	v_mad_u64_u32 v[17:18], null, s21, v10, v[17:18]
	v_add_co_u32 v1, s0, v29, v12
	v_add_co_ci_u32_e64 v2, s0, v30, v13, s0
	v_lshlrev_b64 v[13:14], 2, v[14:15]
	v_mov_b32_e32 v15, v23
	v_mov_b32_e32 v12, v20
	v_mad_u64_u32 v[26:27], null, s21, v8, v[15:16]
	v_mad_u64_u32 v[27:28], null, s20, v6, 0
	;; [unrolled: 1-line block ×3, first 2 shown]
	v_add_co_u32 v13, s0, v29, v13
	v_mov_b32_e32 v12, v25
	v_lshlrev_b64 v[15:16], 2, v[16:17]
	v_mov_b32_e32 v23, v26
	v_add_co_ci_u32_e64 v14, s0, v30, v14, s0
	v_mad_u64_u32 v[17:18], null, s21, v7, v[12:13]
	v_mov_b32_e32 v12, v28
	v_lshlrev_b64 v[18:19], 2, v[19:20]
	v_add_co_u32 v15, s0, v29, v15
	v_add_co_ci_u32_e64 v16, s0, v30, v16, s0
	v_mad_u64_u32 v[20:21], null, s21, v6, v[12:13]
	v_mov_b32_e32 v25, v17
	v_lshlrev_b64 v[21:22], 2, v[22:23]
	v_add_co_u32 v18, s0, v29, v18
	v_add_co_ci_u32_e64 v19, s0, v30, v19, s0
	v_mov_b32_e32 v28, v20
	v_lshlrev_b64 v[23:24], 2, v[24:25]
	v_add_co_u32 v20, s0, v29, v21
	v_add_co_ci_u32_e64 v21, s0, v30, v22, s0
	v_lshlrev_b64 v[25:26], 2, v[27:28]
	v_add_co_u32 v22, s0, v29, v23
	v_add_co_ci_u32_e64 v23, s0, v30, v24, s0
	v_add_co_u32 v24, s0, v29, v25
	v_add_co_ci_u32_e64 v25, s0, v30, v26, s0
	s_clause 0x6
	global_load_dword v12, v[1:2], off
	global_load_dword v17, v[13:14], off
	;; [unrolled: 1-line block ×7, first 2 shown]
.LBB0_14:
	s_or_b32 exec_lo, exec_lo, s1
	v_add_co_u32 v1, s0, s48, v3
	v_add_co_ci_u32_e64 v2, null, s33, 0, s0
	s_xor_b32 s1, s18, -1
	v_cmp_gt_u64_e64 s0, s[28:29], v[1:2]
	s_and_b32 s19, vcc_lo, s0
	s_and_b32 s1, s1, s19
	s_and_saveexec_b32 s19, s1
	s_cbranch_execz .LBB0_16
; %bb.15:
	s_waitcnt vmcnt(4)
	v_mad_u64_u32 v[12:13], null, s22, v3, 0
	s_waitcnt vmcnt(2)
	v_mad_u64_u32 v[14:15], null, s20, v4, 0
	;; [unrolled: 2-line block ×4, first 2 shown]
	v_mov_b32_e32 v2, v13
	s_lshl_b64 s[6:7], s[6:7], 2
	v_mov_b32_e32 v13, v15
	s_add_u32 s1, s12, s6
	s_addc_u32 s6, s13, s7
	v_mad_u64_u32 v[20:21], null, s23, v3, v[2:3]
	v_mad_u64_u32 v[23:24], null, s21, v4, v[13:14]
	v_mov_b32_e32 v2, v17
	v_mad_u64_u32 v[21:22], null, s20, v11, 0
	v_mov_b32_e32 v17, v19
	v_mov_b32_e32 v13, v20
	v_mad_u64_u32 v[19:20], null, s21, v9, v[2:3]
	v_mov_b32_e32 v15, v23
	v_mad_u64_u32 v[24:25], null, s20, v8, 0
	v_lshlrev_b64 v[12:13], 2, v[12:13]
	v_mad_u64_u32 v[9:10], null, s21, v10, v[17:18]
	v_lshlrev_b64 v[14:15], 2, v[14:15]
	v_mov_b32_e32 v2, v22
	v_mov_b32_e32 v17, v19
	v_add_co_u32 v23, s1, s1, v12
	v_add_co_ci_u32_e64 v28, s1, s6, v13, s1
	v_mad_u64_u32 v[10:11], null, s21, v11, v[2:3]
	v_add_co_u32 v12, s1, v23, v14
	v_add_co_ci_u32_e64 v13, s1, v28, v15, s1
	v_lshlrev_b64 v[14:15], 2, v[16:17]
	v_mov_b32_e32 v19, v9
	v_mov_b32_e32 v9, v25
	v_mad_u64_u32 v[16:17], null, s20, v7, 0
	v_mad_u64_u32 v[26:27], null, s20, v6, 0
	;; [unrolled: 1-line block ×3, first 2 shown]
	v_add_co_u32 v14, s1, v23, v14
	v_mov_b32_e32 v2, v17
	v_lshlrev_b64 v[17:18], 2, v[18:19]
	v_add_co_ci_u32_e64 v15, s1, v28, v15, s1
	v_mov_b32_e32 v25, v8
	v_mad_u64_u32 v[7:8], null, s21, v7, v[2:3]
	v_mov_b32_e32 v2, v27
	v_mov_b32_e32 v22, v10
	v_add_co_u32 v8, s1, v23, v17
	v_add_co_ci_u32_e64 v9, s1, v28, v18, s1
	v_mad_u64_u32 v[18:19], null, s21, v6, v[2:3]
	v_lshlrev_b64 v[10:11], 2, v[21:22]
	v_mov_b32_e32 v17, v7
	v_lshlrev_b64 v[19:20], 2, v[24:25]
	v_add_co_u32 v6, s1, v23, v10
	v_mov_b32_e32 v27, v18
	v_add_co_ci_u32_e64 v7, s1, v28, v11, s1
	v_lshlrev_b64 v[10:11], 2, v[16:17]
	v_add_co_u32 v18, s1, v23, v19
	v_lshlrev_b64 v[16:17], 2, v[26:27]
	v_add_co_ci_u32_e64 v19, s1, v28, v20, s1
	v_add_co_u32 v10, s1, v23, v10
	v_add_co_ci_u32_e64 v11, s1, v28, v11, s1
	v_add_co_u32 v20, s1, v23, v16
	v_add_co_ci_u32_e64 v21, s1, v28, v17, s1
	s_clause 0x6
	global_load_dword v12, v[12:13], off
	global_load_dword v17, v[14:15], off
	;; [unrolled: 1-line block ×7, first 2 shown]
.LBB0_16:
	s_or_b32 exec_lo, exec_lo, s19
	s_and_saveexec_b32 s1, vcc_lo
	s_cbranch_execz .LBB0_18
; %bb.17:
	s_waitcnt vmcnt(0)
	v_pk_add_f16 v2, v17, v18
	v_pk_add_f16 v6, v13, v16
	v_pk_add_f16 v7, v17, v18 neg_lo:[0,1] neg_hi:[0,1]
	v_pk_add_f16 v8, v14, v15
	v_pk_add_f16 v11, v15, v14 neg_lo:[0,1] neg_hi:[0,1]
	v_pk_add_f16 v13, v13, v16 neg_lo:[0,1] neg_hi:[0,1]
	v_pk_add_f16 v10, v2, v6
	v_mov_b32_e32 v9, 2
	v_pk_add_f16 v16, v2, v8 neg_lo:[0,1] neg_hi:[0,1]
	v_pk_add_f16 v2, v6, v2 neg_lo:[0,1] neg_hi:[0,1]
	v_pk_add_f16 v17, v11, v13 op_sel:[1,1] op_sel_hi:[0,0]
	v_pk_add_f16 v10, v8, v10
	v_pk_add_f16 v18, v13, v7 op_sel:[1,1] op_sel_hi:[0,0] neg_lo:[0,1] neg_hi:[0,1]
	v_pk_add_f16 v15, v7, v11 op_sel:[1,1] op_sel_hi:[0,0] neg_lo:[0,1] neg_hi:[0,1]
	v_pk_mul_f16 v16, 0x3a52, v16 op_sel_hi:[0,1]
	v_pk_add_f16 v7, v17, v7 op_sel:[0,1] op_sel_hi:[1,0]
	v_pk_add_f16 v12, v12, v10
	v_pk_mul_f16 v17, 0x3b00, v18 op_sel_hi:[0,1]
	v_pk_mul_f16 v18, 0x39e0, v2 op_sel_hi:[0,1]
	v_pk_add_f16 v11, v11, v13 op_sel:[1,1] op_sel_hi:[0,0] neg_lo:[0,1] neg_hi:[0,1]
	v_pk_add_f16 v6, v8, v6 neg_lo:[0,1] neg_hi:[0,1]
	v_pk_mul_f16 v13, 0x3574, v15 op_sel_hi:[0,1]
	v_pk_fma_f16 v10, 0xbcab, v10, v12 op_sel_hi:[0,1,1]
	v_pk_fma_f16 v2, 0x39e0, v2, v16 op_sel_hi:[0,1,1] neg_lo:[0,1,1] neg_hi:[0,1,1]
	v_pk_fma_f16 v8, 0x3574, v15, v17 op_sel_hi:[0,1,1] neg_lo:[0,1,1] neg_hi:[0,1,1]
	;; [unrolled: 1-line block ×4, first 2 shown]
	v_pk_fma_f16 v6, 0x2b26, v6, v16 op_sel_hi:[0,1,1]
	v_pk_fma_f16 v11, 0xb846, v11, v13 op_sel_hi:[0,1,1]
	v_pk_add_f16 v2, v2, v10
	v_pk_fma_f16 v8, 0x370e, v7, v8 op_sel_hi:[0,1,1]
	v_pk_fma_f16 v13, 0x370e, v7, v15 op_sel_hi:[0,1,1]
	v_pk_add_f16 v15, v17, v10
	v_pk_add_f16 v6, v6, v10
	v_pk_fma_f16 v7, 0x370e, v7, v11 op_sel_hi:[0,1,1]
	v_mul_u32_u24_e32 v14, 0x2a0, v4
	v_lshlrev_b32_sdwa v9, v9, v5 dst_sel:DWORD dst_unused:UNUSED_PAD src0_sel:DWORD src1_sel:WORD_0
	v_pk_add_f16 v16, v2, v8
	v_pk_add_f16 v2, v2, v8 neg_lo:[0,1] neg_hi:[0,1]
	v_pk_add_f16 v8, v15, v13 neg_lo:[0,1] neg_hi:[0,1]
	v_pk_add_f16 v10, v15, v13
	v_pk_add_f16 v11, v6, v7 neg_lo:[0,1] neg_hi:[0,1]
	v_pk_add_f16 v6, v6, v7
	v_add3_u32 v9, 0, v14, v9
	v_bfi_b32 v7, 0xffff, v16, v2
	v_bfi_b32 v13, 0xffff, v8, v10
	;; [unrolled: 1-line block ×6, first 2 shown]
	ds_write2_b32 v9, v7, v13 offset0:48 offset1:72
	ds_write2_b32 v9, v8, v2 offset0:96 offset1:120
	ds_write2_b32 v9, v12, v10 offset1:24
	ds_write_b32 v9, v6 offset:576
.LBB0_18:
	s_or_b32 exec_lo, exec_lo, s1
	v_mad_u16 v2, v4, 37, 0x40c
	v_mad_u16 v6, v4, 37, 0x206
	v_mul_lo_u16 v7, v4, 37
	s_load_dwordx2 s[2:3], s[2:3], 0x0
	s_waitcnt vmcnt(0) lgkmcnt(0)
	v_lshrrev_b16 v8, 8, v2
	v_lshrrev_b16 v9, 8, v6
	;; [unrolled: 1-line block ×3, first 2 shown]
	s_barrier
	buffer_gl0_inv
	v_mul_lo_u16 v2, v8, 7
	v_mul_lo_u16 v6, v9, 7
	;; [unrolled: 1-line block ×3, first 2 shown]
	v_mov_b32_e32 v20, 0x60
	v_and_b32_e32 v9, 0xffff, v9
	v_sub_nc_u16 v2, v4, v2
	v_sub_nc_u16 v6, v4, v6
	;; [unrolled: 1-line block ×3, first 2 shown]
	v_and_b32_e32 v8, 0xffff, v8
	s_or_b32 s0, s18, s0
	v_add_nc_u16 v2, v2, 28
	v_add_nc_u16 v11, v6, 14
	v_mov_b32_e32 v6, 2
	v_mad_u16 v10, v10, 14, v12
	v_and_b32_e32 v13, 0xff, v2
	v_and_b32_e32 v11, 0xff, v11
	v_lshlrev_b32_sdwa v15, v6, v12 dst_sel:DWORD dst_unused:UNUSED_PAD src0_sel:DWORD src1_sel:BYTE_0
	v_lshlrev_b32_sdwa v5, v6, v5 dst_sel:DWORD dst_unused:UNUSED_PAD src0_sel:DWORD src1_sel:WORD_0
	v_mul_u32_u24_sdwa v10, v10, v20 dst_sel:DWORD dst_unused:UNUSED_PAD src0_sel:BYTE_0 src1_sel:DWORD
	v_lshlrev_b32_e32 v2, 2, v13
	v_lshlrev_b32_e32 v14, 2, v11
	v_mad_u32_u24 v9, v9, 14, v11
	v_mad_u32_u24 v8, v8, 14, v13
	v_add3_u32 v10, 0, v10, v5
	s_clause 0x2
	global_load_dword v16, v2, s[24:25]
	global_load_dword v14, v14, s[24:25]
	;; [unrolled: 1-line block ×3, first 2 shown]
	v_mul_u32_u24_e32 v2, 0x60, v4
	v_mul_u32_u24_e32 v9, 0x60, v9
	v_mul_u32_u24_e32 v8, 0x60, v8
	v_add3_u32 v2, 0, v2, v5
	v_add3_u32 v9, 0, v9, v5
	v_add3_u32 v5, 0, v8, v5
	ds_read_b32 v17, v2 offset:6720
	ds_read_b32 v18, v2 offset:5376
	;; [unrolled: 1-line block ×3, first 2 shown]
	ds_read_b32 v12, v2
	ds_read_b32 v21, v2 offset:1344
	ds_read_b32 v20, v2 offset:2688
	s_waitcnt vmcnt(0) lgkmcnt(0)
	s_barrier
	buffer_gl0_inv
	v_pk_mul_f16 v22, v16, v17 op_sel:[0,1]
	v_pk_mul_f16 v23, v14, v18 op_sel:[0,1]
	;; [unrolled: 1-line block ×3, first 2 shown]
	v_pk_fma_f16 v11, v16, v17, v22 op_sel:[0,0,1] op_sel_hi:[1,1,0] neg_lo:[0,0,1] neg_hi:[0,0,1]
	v_pk_fma_f16 v25, v14, v18, v23 op_sel:[0,0,1] op_sel_hi:[1,1,0] neg_lo:[0,0,1] neg_hi:[0,0,1]
	;; [unrolled: 1-line block ×3, first 2 shown]
	v_pk_fma_f16 v15, v15, v19, v24 op_sel:[0,0,1] op_sel_hi:[1,0,0]
	v_pk_fma_f16 v14, v14, v18, v23 op_sel:[0,0,1] op_sel_hi:[1,0,0]
	;; [unrolled: 1-line block ×3, first 2 shown]
	v_bfi_b32 v13, 0xffff, v26, v15
	v_bfi_b32 v14, 0xffff, v25, v14
	;; [unrolled: 1-line block ×3, first 2 shown]
	v_pk_add_f16 v13, v12, v13 neg_lo:[0,1] neg_hi:[0,1]
	v_pk_add_f16 v14, v21, v14 neg_lo:[0,1] neg_hi:[0,1]
	;; [unrolled: 1-line block ×3, first 2 shown]
	v_pk_fma_f16 v8, v12, 2.0, v13 op_sel_hi:[1,0,1] neg_lo:[0,0,1] neg_hi:[0,0,1]
	v_pk_fma_f16 v12, v21, 2.0, v14 op_sel_hi:[1,0,1] neg_lo:[0,0,1] neg_hi:[0,0,1]
	;; [unrolled: 1-line block ×3, first 2 shown]
	ds_write2_b32 v10, v8, v13 offset1:168
	ds_write2_b32 v9, v12, v14 offset1:168
	;; [unrolled: 1-line block ×3, first 2 shown]
	s_waitcnt lgkmcnt(0)
	s_barrier
	buffer_gl0_inv
	s_and_saveexec_b32 s1, s0
	s_cbranch_execz .LBB0_20
; %bb.19:
	v_lshrrev_b16 v5, 9, v7
	s_mul_i32 s1, s3, s26
	s_mul_hi_u32 s3, s2, s26
	s_mul_i32 s0, s2, s26
	s_add_i32 s1, s3, s1
	v_mul_lo_u16 v5, v5, 14
	s_lshl_b64 s[0:1], s[0:1], 2
	s_add_u32 s2, s14, s0
	s_addc_u32 s3, s15, s1
	v_sub_nc_u16 v4, v4, v5
	s_lshl_b64 s[0:1], s[4:5], 2
	s_add_u32 s0, s2, s0
	s_addc_u32 s1, s3, s1
	v_and_b32_e32 v11, 0xff, v4
	v_mul_u32_u24_e32 v4, 5, v11
	v_add_nc_u32_e32 v5, 0x46, v11
	v_add_nc_u32_e32 v12, 56, v11
	;; [unrolled: 1-line block ×4, first 2 shown]
	v_lshlrev_b32_e32 v4, 2, v4
	v_add_nc_u32_e32 v16, 14, v11
	v_mul_lo_u32 v5, v1, v5
	v_mul_lo_u32 v12, v1, v12
	;; [unrolled: 1-line block ×3, first 2 shown]
	s_clause 0x1
	global_load_dwordx4 v[7:10], v4, s[24:25] offset:28
	global_load_dword v26, v4, s[24:25] offset:44
	v_mul_lo_u32 v15, v1, v11
	v_mul_lo_u32 v14, v1, v14
	;; [unrolled: 1-line block ×3, first 2 shown]
	v_lshlrev_b32_sdwa v16, v6, v5 dst_sel:DWORD dst_unused:UNUSED_PAD src0_sel:DWORD src1_sel:BYTE_0
	v_lshlrev_b32_sdwa v5, v6, v5 dst_sel:DWORD dst_unused:UNUSED_PAD src0_sel:DWORD src1_sel:BYTE_1
	v_lshlrev_b32_sdwa v17, v6, v12 dst_sel:DWORD dst_unused:UNUSED_PAD src0_sel:DWORD src1_sel:BYTE_0
	v_lshlrev_b32_sdwa v12, v6, v12 dst_sel:DWORD dst_unused:UNUSED_PAD src0_sel:DWORD src1_sel:BYTE_1
	v_lshlrev_b32_sdwa v18, v6, v13 dst_sel:DWORD dst_unused:UNUSED_PAD src0_sel:DWORD src1_sel:BYTE_0
	v_lshlrev_b32_sdwa v4, v6, v15 dst_sel:DWORD dst_unused:UNUSED_PAD src0_sel:DWORD src1_sel:BYTE_0
	v_lshlrev_b32_sdwa v15, v6, v15 dst_sel:DWORD dst_unused:UNUSED_PAD src0_sel:DWORD src1_sel:BYTE_1
	v_lshlrev_b32_sdwa v13, v6, v13 dst_sel:DWORD dst_unused:UNUSED_PAD src0_sel:DWORD src1_sel:BYTE_1
	v_lshlrev_b32_sdwa v19, v6, v14 dst_sel:DWORD dst_unused:UNUSED_PAD src0_sel:DWORD src1_sel:BYTE_0
	v_lshlrev_b32_sdwa v14, v6, v14 dst_sel:DWORD dst_unused:UNUSED_PAD src0_sel:DWORD src1_sel:BYTE_1
	v_lshlrev_b32_sdwa v20, v6, v1 dst_sel:DWORD dst_unused:UNUSED_PAD src0_sel:DWORD src1_sel:BYTE_0
	v_lshlrev_b32_sdwa v1, v6, v1 dst_sel:DWORD dst_unused:UNUSED_PAD src0_sel:DWORD src1_sel:BYTE_1
	s_clause 0xb
	global_load_dword v27, v16, s[16:17]
	global_load_dword v28, v5, s[16:17] offset:1024
	global_load_dword v29, v17, s[16:17]
	global_load_dword v30, v12, s[16:17] offset:1024
	;; [unrolled: 2-line block ×6, first 2 shown]
	v_add_nc_u32_e32 v6, 0xa80, v2
	v_mov_b32_e32 v12, 0x187
	v_add_nc_u32_e32 v1, 0x540, v2
	v_mad_u64_u32 v[4:5], null, s10, v3, 0
	ds_read_b32 v39, v2 offset:5376
	ds_read_b32 v40, v2
	ds_read_b32 v41, v6
	;; [unrolled: 1-line block ×3, first 2 shown]
	ds_read_b32 v43, v2 offset:6720
	ds_read_b32 v44, v2 offset:4032
	v_mul_u32_u24_sdwa v1, v0, v12 dst_sel:DWORD dst_unused:UNUSED_PAD src0_sel:WORD_0 src1_sel:DWORD
	v_mov_b32_e32 v0, v5
	v_lshrrev_b32_e32 v2, 17, v1
	v_mad_u64_u32 v[0:1], null, s11, v3, v[0:1]
	v_mul_lo_u16 v1, 0x54, v2
	v_add_nc_u32_sdwa v6, v11, v1 dst_sel:DWORD dst_unused:UNUSED_PAD src0_sel:DWORD src1_sel:WORD_0
	v_mov_b32_e32 v5, v0
	s_waitcnt lgkmcnt(5)
	v_lshrrev_b32_e32 v45, 16, v39
	s_waitcnt lgkmcnt(3)
	v_lshrrev_b32_e32 v47, 16, v41
	;; [unrolled: 2-line block ×3, first 2 shown]
	v_add_nc_u32_e32 v21, 14, v6
	v_add_nc_u32_e32 v22, 28, v6
	v_mad_u64_u32 v[0:1], null, s8, v6, 0
	v_add_nc_u32_e32 v23, 42, v6
	v_mad_u64_u32 v[2:3], null, s8, v21, 0
	v_mad_u64_u32 v[11:12], null, s8, v22, 0
	v_add_nc_u32_e32 v24, 56, v6
	v_mad_u64_u32 v[13:14], null, s8, v23, 0
	v_add_nc_u32_e32 v25, 0x46, v6
	v_mad_u64_u32 v[19:20], null, s9, v6, v[1:2]
	v_mov_b32_e32 v1, v3
	v_mad_u64_u32 v[15:16], null, s8, v24, 0
	v_lshlrev_b64 v[4:5], 2, v[4:5]
	v_mov_b32_e32 v3, v12
	v_mad_u64_u32 v[17:18], null, s8, v25, 0
	v_mad_u64_u32 v[20:21], null, s9, v21, v[1:2]
	v_mov_b32_e32 v6, v14
	v_mad_u64_u32 v[21:22], null, s9, v22, v[3:4]
	v_mov_b32_e32 v12, v16
	v_mov_b32_e32 v1, v19
	;; [unrolled: 1-line block ×4, first 2 shown]
	s_waitcnt lgkmcnt(0)
	v_lshrrev_b32_e32 v49, 16, v44
	v_lshrrev_b32_e32 v50, 16, v43
	v_lshlrev_b64 v[0:1], 2, v[0:1]
	v_lshrrev_b32_e32 v46, 16, v40
	v_lshlrev_b64 v[2:3], 2, v[2:3]
	s_waitcnt vmcnt(13)
	v_mad_u64_u32 v[22:23], null, s9, v23, v[6:7]
	v_mad_u64_u32 v[23:24], null, s9, v24, v[12:13]
	v_add_co_u32 v6, vcc_lo, s0, v4
	v_mov_b32_e32 v12, v21
	v_mad_u64_u32 v[24:25], null, s9, v25, v[14:15]
	v_add_co_ci_u32_e32 v19, vcc_lo, s1, v5, vcc_lo
	v_mov_b32_e32 v14, v22
	v_lshlrev_b64 v[4:5], 2, v[11:12]
	v_add_co_u32 v0, vcc_lo, v6, v0
	v_mov_b32_e32 v16, v23
	v_add_co_ci_u32_e32 v1, vcc_lo, v19, v1, vcc_lo
	v_lshlrev_b64 v[11:12], 2, v[13:14]
	v_add_co_u32 v2, vcc_lo, v6, v2
	v_mov_b32_e32 v18, v24
	v_add_co_ci_u32_e32 v3, vcc_lo, v19, v3, vcc_lo
	v_lshlrev_b64 v[13:14], 2, v[15:16]
	v_add_co_u32 v4, vcc_lo, v6, v4
	v_add_co_ci_u32_e32 v5, vcc_lo, v19, v5, vcc_lo
	v_lshlrev_b64 v[15:16], 2, v[17:18]
	v_add_co_u32 v11, vcc_lo, v6, v11
	v_add_co_ci_u32_e32 v12, vcc_lo, v19, v12, vcc_lo
	v_add_co_u32 v13, vcc_lo, v6, v13
	v_add_co_ci_u32_e32 v14, vcc_lo, v19, v14, vcc_lo
	;; [unrolled: 2-line block ×3, first 2 shown]
	v_mul_f16_sdwa v6, v8, v47 dst_sel:DWORD dst_unused:UNUSED_PAD src0_sel:WORD_1 src1_sel:DWORD
	v_mul_f16_sdwa v17, v10, v45 dst_sel:DWORD dst_unused:UNUSED_PAD src0_sel:WORD_1 src1_sel:DWORD
	;; [unrolled: 1-line block ×6, first 2 shown]
	s_waitcnt vmcnt(12)
	v_mul_f16_sdwa v22, v26, v50 dst_sel:DWORD dst_unused:UNUSED_PAD src0_sel:WORD_1 src1_sel:DWORD
	v_mul_f16_sdwa v23, v9, v44 dst_sel:DWORD dst_unused:UNUSED_PAD src0_sel:WORD_1 src1_sel:DWORD
	;; [unrolled: 1-line block ×4, first 2 shown]
	v_fma_f16 v6, v8, v41, -v6
	v_fma_f16 v17, v10, v39, -v17
	v_fmac_f16_e32 v18, v8, v47
	v_fmac_f16_e32 v19, v10, v45
	v_fma_f16 v8, v7, v42, -v20
	v_fma_f16 v10, v9, v44, -v21
	;; [unrolled: 1-line block ×3, first 2 shown]
	v_fmac_f16_e32 v23, v9, v49
	v_fmac_f16_e32 v24, v26, v50
	v_fmac_f16_e32 v25, v7, v48
	s_waitcnt vmcnt(11)
	v_lshrrev_b32_e32 v7, 16, v27
	v_add_f16_e32 v50, v10, v20
	s_waitcnt vmcnt(10)
	v_mul_f16_sdwa v9, v27, v28 dst_sel:DWORD dst_unused:UNUSED_PAD src0_sel:DWORD src1_sel:WORD_1
	v_add_f16_e32 v53, v23, v24
	s_waitcnt vmcnt(9)
	v_lshrrev_b32_e32 v21, 16, v29
	s_waitcnt vmcnt(8)
	v_mul_f16_sdwa v22, v29, v30 dst_sel:DWORD dst_unused:UNUSED_PAD src0_sel:DWORD src1_sel:WORD_1
	s_waitcnt vmcnt(7)
	v_lshrrev_b32_e32 v26, 16, v31
	s_waitcnt vmcnt(6)
	v_mul_f16_sdwa v39, v31, v32 dst_sel:DWORD dst_unused:UNUSED_PAD src0_sel:DWORD src1_sel:WORD_1
	s_waitcnt vmcnt(5)
	v_lshrrev_b32_e32 v41, 16, v33
	v_sub_f16_e32 v48, v6, v17
	v_add_f16_e32 v49, v18, v19
	v_sub_f16_e32 v51, v23, v24
	v_sub_f16_e32 v52, v10, v20
	v_add_f16_e32 v54, v6, v17
	v_sub_f16_e32 v55, v18, v19
	v_add_f16_e32 v18, v46, v18
	v_add_f16_e32 v23, v25, v23
	;; [unrolled: 1-line block ×4, first 2 shown]
	v_mul_f16_sdwa v56, v7, v28 dst_sel:DWORD dst_unused:UNUSED_PAD src0_sel:DWORD src1_sel:WORD_1
	v_fma_f16 v8, -0.5, v50, v8
	v_fma_f16 v25, -0.5, v53, v25
	s_waitcnt vmcnt(4)
	v_mul_f16_sdwa v42, v33, v34 dst_sel:DWORD dst_unused:UNUSED_PAD src0_sel:DWORD src1_sel:WORD_1
	s_waitcnt vmcnt(3)
	v_lshrrev_b32_e32 v43, 16, v35
	s_waitcnt vmcnt(2)
	v_mul_f16_sdwa v44, v35, v36 dst_sel:DWORD dst_unused:UNUSED_PAD src0_sel:DWORD src1_sel:WORD_1
	s_waitcnt vmcnt(1)
	v_lshrrev_b32_e32 v45, 16, v37
	s_waitcnt vmcnt(0)
	v_mul_f16_sdwa v47, v37, v38 dst_sel:DWORD dst_unused:UNUSED_PAD src0_sel:DWORD src1_sel:WORD_1
	v_fmac_f16_e32 v9, v7, v28
	v_mul_f16_sdwa v7, v21, v30 dst_sel:DWORD dst_unused:UNUSED_PAD src0_sel:DWORD src1_sel:WORD_1
	v_fmac_f16_e32 v22, v21, v30
	v_mul_f16_sdwa v21, v26, v32 dst_sel:DWORD dst_unused:UNUSED_PAD src0_sel:DWORD src1_sel:WORD_1
	v_fmac_f16_e32 v39, v26, v32
	v_mul_f16_sdwa v26, v41, v34 dst_sel:DWORD dst_unused:UNUSED_PAD src0_sel:DWORD src1_sel:WORD_1
	v_add_f16_e32 v18, v18, v19
	v_add_f16_e32 v19, v23, v24
	;; [unrolled: 1-line block ×4, first 2 shown]
	v_fma_f16 v17, v27, v28, -v56
	v_fmamk_f16 v27, v51, 0xbaee, v8
	v_fmamk_f16 v28, v52, 0x3aee, v25
	v_fmac_f16_e32 v25, 0xbaee, v52
	v_fmac_f16_e32 v8, 0x3aee, v51
	;; [unrolled: 1-line block ×3, first 2 shown]
	v_mul_f16_sdwa v41, v43, v36 dst_sel:DWORD dst_unused:UNUSED_PAD src0_sel:DWORD src1_sel:WORD_1
	v_fmac_f16_e32 v44, v43, v36
	v_mul_f16_sdwa v43, v45, v38 dst_sel:DWORD dst_unused:UNUSED_PAD src0_sel:DWORD src1_sel:WORD_1
	v_fmac_f16_e32 v47, v45, v38
	v_fma_f16 v45, -0.5, v49, v46
	v_fma_f16 v40, -0.5, v54, v40
	v_fma_f16 v7, v29, v30, -v7
	v_fma_f16 v20, v31, v32, -v21
	;; [unrolled: 1-line block ×3, first 2 shown]
	v_sub_f16_e32 v30, v18, v19
	v_sub_f16_e32 v31, v6, v10
	v_add_f16_e32 v18, v18, v19
	v_add_f16_e32 v6, v6, v10
	v_mul_f16_e32 v10, -0.5, v28
	v_mul_f16_e32 v19, -0.5, v27
	v_mul_f16_e32 v32, 0xbaee, v8
	v_mul_f16_e32 v33, 0x3aee, v25
	v_fma_f16 v23, v35, v36, -v41
	v_fma_f16 v24, v37, v38, -v43
	v_fmamk_f16 v26, v48, 0x3aee, v45
	v_fmamk_f16 v29, v55, 0xbaee, v40
	v_fmac_f16_e32 v45, 0xbaee, v48
	v_fmac_f16_e32 v40, 0x3aee, v55
	v_mul_f16_e32 v34, v31, v39
	v_mul_f16_e32 v35, v30, v39
	;; [unrolled: 1-line block ×3, first 2 shown]
	v_fmac_f16_e32 v10, 0xbaee, v27
	v_fmac_f16_e32 v19, 0x3aee, v28
	v_fmac_f16_e32 v32, 0.5, v25
	v_fmac_f16_e32 v33, 0.5, v8
	v_mul_f16_e32 v37, v18, v47
	v_fmac_f16_e32 v34, v30, v20
	v_fma_f16 v8, v31, v20, -v35
	v_fmac_f16_e32 v36, v18, v24
	v_sub_f16_e32 v18, v26, v10
	v_sub_f16_e32 v20, v29, v19
	v_add_f16_e32 v10, v26, v10
	v_add_f16_e32 v19, v29, v19
	;; [unrolled: 1-line block ×4, first 2 shown]
	v_fma_f16 v6, v6, v24, -v37
	v_sub_f16_e32 v24, v45, v32
	v_sub_f16_e32 v25, v40, v33
	v_mul_f16_e32 v30, v19, v42
	v_mul_f16_e32 v31, v27, v44
	;; [unrolled: 1-line block ×8, first 2 shown]
	v_fmac_f16_e32 v30, v10, v21
	v_fmac_f16_e32 v31, v26, v23
	v_fma_f16 v10, v27, v23, -v32
	v_fmac_f16_e32 v28, v18, v17
	v_fma_f16 v18, v19, v21, -v33
	v_pack_b32_f16 v6, v6, v36
	v_fmac_f16_e32 v29, v24, v7
	v_fma_f16 v7, v25, v7, -v22
	v_fma_f16 v9, v20, v17, -v9
	v_pack_b32_f16 v10, v10, v31
	v_pack_b32_f16 v17, v18, v30
	;; [unrolled: 1-line block ×3, first 2 shown]
	global_store_dword v[0:1], v6, off
	v_pack_b32_f16 v0, v7, v29
	v_pack_b32_f16 v1, v9, v28
	global_store_dword v[2:3], v10, off
	global_store_dword v[4:5], v17, off
	;; [unrolled: 1-line block ×5, first 2 shown]
.LBB0_20:
	s_endpgm
	.section	.rodata,"a",@progbits
	.p2align	6, 0x0
	.amdhsa_kernel fft_rtc_fwd_len84_factors_7_2_6_wgs_336_tpt_14_half_op_CI_CI_sbcc_twdbase8_2step_dirReg
		.amdhsa_group_segment_fixed_size 0
		.amdhsa_private_segment_fixed_size 0
		.amdhsa_kernarg_size 112
		.amdhsa_user_sgpr_count 6
		.amdhsa_user_sgpr_private_segment_buffer 1
		.amdhsa_user_sgpr_dispatch_ptr 0
		.amdhsa_user_sgpr_queue_ptr 0
		.amdhsa_user_sgpr_kernarg_segment_ptr 1
		.amdhsa_user_sgpr_dispatch_id 0
		.amdhsa_user_sgpr_flat_scratch_init 0
		.amdhsa_user_sgpr_private_segment_size 0
		.amdhsa_wavefront_size32 1
		.amdhsa_uses_dynamic_stack 0
		.amdhsa_system_sgpr_private_segment_wavefront_offset 0
		.amdhsa_system_sgpr_workgroup_id_x 1
		.amdhsa_system_sgpr_workgroup_id_y 0
		.amdhsa_system_sgpr_workgroup_id_z 0
		.amdhsa_system_sgpr_workgroup_info 0
		.amdhsa_system_vgpr_workitem_id 0
		.amdhsa_next_free_vgpr 57
		.amdhsa_next_free_sgpr 59
		.amdhsa_reserve_vcc 1
		.amdhsa_reserve_flat_scratch 0
		.amdhsa_float_round_mode_32 0
		.amdhsa_float_round_mode_16_64 0
		.amdhsa_float_denorm_mode_32 3
		.amdhsa_float_denorm_mode_16_64 3
		.amdhsa_dx10_clamp 1
		.amdhsa_ieee_mode 1
		.amdhsa_fp16_overflow 0
		.amdhsa_workgroup_processor_mode 1
		.amdhsa_memory_ordered 1
		.amdhsa_forward_progress 0
		.amdhsa_shared_vgpr_count 0
		.amdhsa_exception_fp_ieee_invalid_op 0
		.amdhsa_exception_fp_denorm_src 0
		.amdhsa_exception_fp_ieee_div_zero 0
		.amdhsa_exception_fp_ieee_overflow 0
		.amdhsa_exception_fp_ieee_underflow 0
		.amdhsa_exception_fp_ieee_inexact 0
		.amdhsa_exception_int_div_zero 0
	.end_amdhsa_kernel
	.text
.Lfunc_end0:
	.size	fft_rtc_fwd_len84_factors_7_2_6_wgs_336_tpt_14_half_op_CI_CI_sbcc_twdbase8_2step_dirReg, .Lfunc_end0-fft_rtc_fwd_len84_factors_7_2_6_wgs_336_tpt_14_half_op_CI_CI_sbcc_twdbase8_2step_dirReg
                                        ; -- End function
	.section	.AMDGPU.csdata,"",@progbits
; Kernel info:
; codeLenInByte = 5524
; NumSgprs: 61
; NumVgprs: 57
; ScratchSize: 0
; MemoryBound: 0
; FloatMode: 240
; IeeeMode: 1
; LDSByteSize: 0 bytes/workgroup (compile time only)
; SGPRBlocks: 7
; VGPRBlocks: 7
; NumSGPRsForWavesPerEU: 61
; NumVGPRsForWavesPerEU: 57
; Occupancy: 14
; WaveLimiterHint : 1
; COMPUTE_PGM_RSRC2:SCRATCH_EN: 0
; COMPUTE_PGM_RSRC2:USER_SGPR: 6
; COMPUTE_PGM_RSRC2:TRAP_HANDLER: 0
; COMPUTE_PGM_RSRC2:TGID_X_EN: 1
; COMPUTE_PGM_RSRC2:TGID_Y_EN: 0
; COMPUTE_PGM_RSRC2:TGID_Z_EN: 0
; COMPUTE_PGM_RSRC2:TIDIG_COMP_CNT: 0
	.text
	.p2alignl 6, 3214868480
	.fill 48, 4, 3214868480
	.type	__hip_cuid_eb712f528cca0580,@object ; @__hip_cuid_eb712f528cca0580
	.section	.bss,"aw",@nobits
	.globl	__hip_cuid_eb712f528cca0580
__hip_cuid_eb712f528cca0580:
	.byte	0                               ; 0x0
	.size	__hip_cuid_eb712f528cca0580, 1

	.ident	"AMD clang version 19.0.0git (https://github.com/RadeonOpenCompute/llvm-project roc-6.4.0 25133 c7fe45cf4b819c5991fe208aaa96edf142730f1d)"
	.section	".note.GNU-stack","",@progbits
	.addrsig
	.addrsig_sym __hip_cuid_eb712f528cca0580
	.amdgpu_metadata
---
amdhsa.kernels:
  - .args:
      - .actual_access:  read_only
        .address_space:  global
        .offset:         0
        .size:           8
        .value_kind:     global_buffer
      - .address_space:  global
        .offset:         8
        .size:           8
        .value_kind:     global_buffer
      - .offset:         16
        .size:           8
        .value_kind:     by_value
      - .actual_access:  read_only
        .address_space:  global
        .offset:         24
        .size:           8
        .value_kind:     global_buffer
      - .actual_access:  read_only
        .address_space:  global
        .offset:         32
        .size:           8
        .value_kind:     global_buffer
      - .actual_access:  read_only
        .address_space:  global
        .offset:         40
        .size:           8
        .value_kind:     global_buffer
      - .offset:         48
        .size:           8
        .value_kind:     by_value
      - .actual_access:  read_only
        .address_space:  global
        .offset:         56
        .size:           8
        .value_kind:     global_buffer
      - .actual_access:  read_only
        .address_space:  global
        .offset:         64
        .size:           8
        .value_kind:     global_buffer
      - .offset:         72
        .size:           4
        .value_kind:     by_value
      - .actual_access:  read_only
        .address_space:  global
        .offset:         80
        .size:           8
        .value_kind:     global_buffer
      - .actual_access:  read_only
        .address_space:  global
        .offset:         88
        .size:           8
        .value_kind:     global_buffer
      - .actual_access:  read_only
        .address_space:  global
        .offset:         96
        .size:           8
        .value_kind:     global_buffer
      - .actual_access:  write_only
        .address_space:  global
        .offset:         104
        .size:           8
        .value_kind:     global_buffer
    .group_segment_fixed_size: 0
    .kernarg_segment_align: 8
    .kernarg_segment_size: 112
    .language:       OpenCL C
    .language_version:
      - 2
      - 0
    .max_flat_workgroup_size: 336
    .name:           fft_rtc_fwd_len84_factors_7_2_6_wgs_336_tpt_14_half_op_CI_CI_sbcc_twdbase8_2step_dirReg
    .private_segment_fixed_size: 0
    .sgpr_count:     61
    .sgpr_spill_count: 0
    .symbol:         fft_rtc_fwd_len84_factors_7_2_6_wgs_336_tpt_14_half_op_CI_CI_sbcc_twdbase8_2step_dirReg.kd
    .uniform_work_group_size: 1
    .uses_dynamic_stack: false
    .vgpr_count:     57
    .vgpr_spill_count: 0
    .wavefront_size: 32
    .workgroup_processor_mode: 1
amdhsa.target:   amdgcn-amd-amdhsa--gfx1030
amdhsa.version:
  - 1
  - 2
...

	.end_amdgpu_metadata
